;; amdgpu-corpus repo=ROCm/rocFFT kind=compiled arch=gfx1030 opt=O3
	.text
	.amdgcn_target "amdgcn-amd-amdhsa--gfx1030"
	.amdhsa_code_object_version 6
	.protected	fft_rtc_fwd_len935_factors_17_11_5_wgs_255_tpt_85_halfLds_half_op_CI_CI_unitstride_sbrr_dirReg ; -- Begin function fft_rtc_fwd_len935_factors_17_11_5_wgs_255_tpt_85_halfLds_half_op_CI_CI_unitstride_sbrr_dirReg
	.globl	fft_rtc_fwd_len935_factors_17_11_5_wgs_255_tpt_85_halfLds_half_op_CI_CI_unitstride_sbrr_dirReg
	.p2align	8
	.type	fft_rtc_fwd_len935_factors_17_11_5_wgs_255_tpt_85_halfLds_half_op_CI_CI_unitstride_sbrr_dirReg,@function
fft_rtc_fwd_len935_factors_17_11_5_wgs_255_tpt_85_halfLds_half_op_CI_CI_unitstride_sbrr_dirReg: ; @fft_rtc_fwd_len935_factors_17_11_5_wgs_255_tpt_85_halfLds_half_op_CI_CI_unitstride_sbrr_dirReg
; %bb.0:
	s_load_dwordx4 s[8:11], s[4:5], 0x0
	v_mul_u32_u24_e32 v1, 0x304, v0
	s_clause 0x1
	s_load_dwordx4 s[12:15], s[4:5], 0x58
	s_load_dwordx4 s[16:19], s[4:5], 0x18
	v_mov_b32_e32 v5, 0
	v_mov_b32_e32 v3, 0
	;; [unrolled: 1-line block ×3, first 2 shown]
	v_lshrrev_b32_e32 v1, 16, v1
	v_mov_b32_e32 v10, v4
	v_mad_u64_u32 v[1:2], null, s6, 3, v[1:2]
	v_mov_b32_e32 v2, v5
	v_mov_b32_e32 v9, v3
	;; [unrolled: 1-line block ×4, first 2 shown]
	s_waitcnt lgkmcnt(0)
	v_cmp_lt_u64_e64 s0, s[10:11], 2
	s_and_b32 vcc_lo, exec_lo, s0
	s_cbranch_vccnz .LBB0_8
; %bb.1:
	s_load_dwordx2 s[0:1], s[4:5], 0x10
	v_mov_b32_e32 v3, 0
	v_mov_b32_e32 v4, 0
	s_add_u32 s2, s18, 8
	v_mov_b32_e32 v8, v2
	s_addc_u32 s3, s19, 0
	v_mov_b32_e32 v7, v1
	v_mov_b32_e32 v10, v4
	s_add_u32 s6, s16, 8
	v_mov_b32_e32 v9, v3
	s_addc_u32 s7, s17, 0
	s_mov_b64 s[22:23], 1
	s_waitcnt lgkmcnt(0)
	s_add_u32 s20, s0, 8
	s_addc_u32 s21, s1, 0
.LBB0_2:                                ; =>This Inner Loop Header: Depth=1
	s_load_dwordx2 s[24:25], s[20:21], 0x0
                                        ; implicit-def: $vgpr11_vgpr12
	s_mov_b32 s0, exec_lo
	s_waitcnt lgkmcnt(0)
	v_or_b32_e32 v6, s25, v8
	v_cmpx_ne_u64_e32 0, v[5:6]
	s_xor_b32 s1, exec_lo, s0
	s_cbranch_execz .LBB0_4
; %bb.3:                                ;   in Loop: Header=BB0_2 Depth=1
	v_cvt_f32_u32_e32 v2, s24
	v_cvt_f32_u32_e32 v6, s25
	s_sub_u32 s0, 0, s24
	s_subb_u32 s26, 0, s25
	v_fmac_f32_e32 v2, 0x4f800000, v6
	v_rcp_f32_e32 v2, v2
	v_mul_f32_e32 v2, 0x5f7ffffc, v2
	v_mul_f32_e32 v6, 0x2f800000, v2
	v_trunc_f32_e32 v6, v6
	v_fmac_f32_e32 v2, 0xcf800000, v6
	v_cvt_u32_f32_e32 v6, v6
	v_cvt_u32_f32_e32 v2, v2
	v_mul_lo_u32 v11, s0, v6
	v_mul_hi_u32 v12, s0, v2
	v_mul_lo_u32 v13, s26, v2
	v_add_nc_u32_e32 v11, v12, v11
	v_mul_lo_u32 v12, s0, v2
	v_add_nc_u32_e32 v11, v11, v13
	v_mul_hi_u32 v13, v2, v12
	v_mul_lo_u32 v14, v2, v11
	v_mul_hi_u32 v15, v2, v11
	v_mul_hi_u32 v16, v6, v12
	v_mul_lo_u32 v12, v6, v12
	v_mul_hi_u32 v17, v6, v11
	v_mul_lo_u32 v11, v6, v11
	v_add_co_u32 v13, vcc_lo, v13, v14
	v_add_co_ci_u32_e32 v14, vcc_lo, 0, v15, vcc_lo
	v_add_co_u32 v12, vcc_lo, v13, v12
	v_add_co_ci_u32_e32 v12, vcc_lo, v14, v16, vcc_lo
	v_add_co_ci_u32_e32 v13, vcc_lo, 0, v17, vcc_lo
	v_add_co_u32 v11, vcc_lo, v12, v11
	v_add_co_ci_u32_e32 v12, vcc_lo, 0, v13, vcc_lo
	v_add_co_u32 v2, vcc_lo, v2, v11
	v_add_co_ci_u32_e32 v6, vcc_lo, v6, v12, vcc_lo
	v_mul_hi_u32 v11, s0, v2
	v_mul_lo_u32 v13, s26, v2
	v_mul_lo_u32 v12, s0, v6
	v_add_nc_u32_e32 v11, v11, v12
	v_mul_lo_u32 v12, s0, v2
	v_add_nc_u32_e32 v11, v11, v13
	v_mul_hi_u32 v13, v2, v12
	v_mul_lo_u32 v14, v2, v11
	v_mul_hi_u32 v15, v2, v11
	v_mul_hi_u32 v16, v6, v12
	v_mul_lo_u32 v12, v6, v12
	v_mul_hi_u32 v17, v6, v11
	v_mul_lo_u32 v11, v6, v11
	v_add_co_u32 v13, vcc_lo, v13, v14
	v_add_co_ci_u32_e32 v14, vcc_lo, 0, v15, vcc_lo
	v_add_co_u32 v12, vcc_lo, v13, v12
	v_add_co_ci_u32_e32 v12, vcc_lo, v14, v16, vcc_lo
	v_add_co_ci_u32_e32 v13, vcc_lo, 0, v17, vcc_lo
	v_add_co_u32 v11, vcc_lo, v12, v11
	v_add_co_ci_u32_e32 v12, vcc_lo, 0, v13, vcc_lo
	v_add_co_u32 v2, vcc_lo, v2, v11
	v_add_co_ci_u32_e32 v6, vcc_lo, v6, v12, vcc_lo
	v_mul_hi_u32 v17, v7, v2
	v_mad_u64_u32 v[13:14], null, v8, v2, 0
	v_mad_u64_u32 v[11:12], null, v7, v6, 0
	;; [unrolled: 1-line block ×3, first 2 shown]
	v_add_co_u32 v2, vcc_lo, v17, v11
	v_add_co_ci_u32_e32 v6, vcc_lo, 0, v12, vcc_lo
	v_add_co_u32 v2, vcc_lo, v2, v13
	v_add_co_ci_u32_e32 v2, vcc_lo, v6, v14, vcc_lo
	v_add_co_ci_u32_e32 v6, vcc_lo, 0, v16, vcc_lo
	v_add_co_u32 v2, vcc_lo, v2, v15
	v_add_co_ci_u32_e32 v6, vcc_lo, 0, v6, vcc_lo
	v_mul_lo_u32 v13, s25, v2
	v_mad_u64_u32 v[11:12], null, s24, v2, 0
	v_mul_lo_u32 v14, s24, v6
	v_sub_co_u32 v11, vcc_lo, v7, v11
	v_add3_u32 v12, v12, v14, v13
	v_sub_nc_u32_e32 v13, v8, v12
	v_subrev_co_ci_u32_e64 v13, s0, s25, v13, vcc_lo
	v_add_co_u32 v14, s0, v2, 2
	v_add_co_ci_u32_e64 v15, s0, 0, v6, s0
	v_sub_co_u32 v16, s0, v11, s24
	v_sub_co_ci_u32_e32 v12, vcc_lo, v8, v12, vcc_lo
	v_subrev_co_ci_u32_e64 v13, s0, 0, v13, s0
	v_cmp_le_u32_e32 vcc_lo, s24, v16
	v_cmp_eq_u32_e64 s0, s25, v12
	v_cndmask_b32_e64 v16, 0, -1, vcc_lo
	v_cmp_le_u32_e32 vcc_lo, s25, v13
	v_cndmask_b32_e64 v17, 0, -1, vcc_lo
	v_cmp_le_u32_e32 vcc_lo, s24, v11
	;; [unrolled: 2-line block ×3, first 2 shown]
	v_cndmask_b32_e64 v18, 0, -1, vcc_lo
	v_cmp_eq_u32_e32 vcc_lo, s25, v13
	v_cndmask_b32_e64 v11, v18, v11, s0
	v_cndmask_b32_e32 v13, v17, v16, vcc_lo
	v_add_co_u32 v16, vcc_lo, v2, 1
	v_add_co_ci_u32_e32 v17, vcc_lo, 0, v6, vcc_lo
	v_cmp_ne_u32_e32 vcc_lo, 0, v13
	v_cndmask_b32_e32 v12, v17, v15, vcc_lo
	v_cndmask_b32_e32 v13, v16, v14, vcc_lo
	v_cmp_ne_u32_e32 vcc_lo, 0, v11
	v_cndmask_b32_e32 v12, v6, v12, vcc_lo
	v_cndmask_b32_e32 v11, v2, v13, vcc_lo
.LBB0_4:                                ;   in Loop: Header=BB0_2 Depth=1
	s_andn2_saveexec_b32 s0, s1
	s_cbranch_execz .LBB0_6
; %bb.5:                                ;   in Loop: Header=BB0_2 Depth=1
	v_cvt_f32_u32_e32 v2, s24
	s_sub_i32 s1, 0, s24
	v_rcp_iflag_f32_e32 v2, v2
	v_mul_f32_e32 v2, 0x4f7ffffe, v2
	v_cvt_u32_f32_e32 v2, v2
	v_mul_lo_u32 v6, s1, v2
	v_mul_hi_u32 v6, v2, v6
	v_add_nc_u32_e32 v2, v2, v6
	v_mul_hi_u32 v2, v7, v2
	v_mul_lo_u32 v6, v2, s24
	v_add_nc_u32_e32 v11, 1, v2
	v_sub_nc_u32_e32 v6, v7, v6
	v_subrev_nc_u32_e32 v12, s24, v6
	v_cmp_le_u32_e32 vcc_lo, s24, v6
	v_cndmask_b32_e32 v6, v6, v12, vcc_lo
	v_cndmask_b32_e32 v2, v2, v11, vcc_lo
	v_mov_b32_e32 v12, v5
	v_cmp_le_u32_e32 vcc_lo, s24, v6
	v_add_nc_u32_e32 v11, 1, v2
	v_cndmask_b32_e32 v11, v2, v11, vcc_lo
.LBB0_6:                                ;   in Loop: Header=BB0_2 Depth=1
	s_or_b32 exec_lo, exec_lo, s0
	v_mul_lo_u32 v2, v12, s24
	v_mul_lo_u32 v6, v11, s25
	s_load_dwordx2 s[0:1], s[6:7], 0x0
	v_mad_u64_u32 v[13:14], null, v11, s24, 0
	s_load_dwordx2 s[24:25], s[2:3], 0x0
	s_add_u32 s22, s22, 1
	s_addc_u32 s23, s23, 0
	s_add_u32 s2, s2, 8
	s_addc_u32 s3, s3, 0
	s_add_u32 s6, s6, 8
	v_add3_u32 v2, v14, v6, v2
	v_sub_co_u32 v6, vcc_lo, v7, v13
	s_addc_u32 s7, s7, 0
	s_add_u32 s20, s20, 8
	v_sub_co_ci_u32_e32 v2, vcc_lo, v8, v2, vcc_lo
	s_addc_u32 s21, s21, 0
	s_waitcnt lgkmcnt(0)
	v_mul_lo_u32 v7, s0, v2
	v_mul_lo_u32 v8, s1, v6
	v_mad_u64_u32 v[3:4], null, s0, v6, v[3:4]
	v_mul_lo_u32 v2, s24, v2
	v_mul_lo_u32 v13, s25, v6
	v_mad_u64_u32 v[9:10], null, s24, v6, v[9:10]
	v_cmp_ge_u64_e64 s0, s[22:23], s[10:11]
	v_add3_u32 v4, v8, v4, v7
	v_add3_u32 v10, v13, v10, v2
	s_and_b32 vcc_lo, exec_lo, s0
	s_cbranch_vccnz .LBB0_8
; %bb.7:                                ;   in Loop: Header=BB0_2 Depth=1
	v_mov_b32_e32 v7, v11
	v_mov_b32_e32 v8, v12
	s_branch .LBB0_2
.LBB0_8:
	s_load_dwordx2 s[0:1], s[4:5], 0x28
	v_mul_hi_u32 v2, 0x3030304, v0
	s_lshl_b64 s[4:5], s[10:11], 3
	v_mov_b32_e32 v22, 0
	s_add_u32 s2, s18, s4
	s_addc_u32 s3, s19, s5
                                        ; implicit-def: $vgpr29
                                        ; implicit-def: $vgpr33
                                        ; implicit-def: $vgpr27
                                        ; implicit-def: $vgpr34
                                        ; implicit-def: $vgpr26
                                        ; implicit-def: $vgpr35
                                        ; implicit-def: $vgpr25
                                        ; implicit-def: $vgpr36
                                        ; implicit-def: $vgpr24
                                        ; implicit-def: $vgpr31
                                        ; implicit-def: $vgpr23
                                        ; implicit-def: $vgpr32
                                        ; implicit-def: $vgpr21
                                        ; implicit-def: $vgpr30
                                        ; implicit-def: $vgpr20
                                        ; implicit-def: $vgpr5
                                        ; implicit-def: $vgpr6
                                        ; implicit-def: $vgpr43
                                        ; implicit-def: $vgpr14
                                        ; implicit-def: $vgpr42
                                        ; implicit-def: $vgpr15
                                        ; implicit-def: $vgpr41
                                        ; implicit-def: $vgpr16
                                        ; implicit-def: $vgpr40
                                        ; implicit-def: $vgpr17
                                        ; implicit-def: $vgpr39
                                        ; implicit-def: $vgpr18
                                        ; implicit-def: $vgpr38
                                        ; implicit-def: $vgpr19
                                        ; implicit-def: $vgpr37
                                        ; implicit-def: $vgpr28
                                        ; implicit-def: $vgpr8
	v_mul_u32_u24_e32 v2, 0x55, v2
	v_sub_nc_u32_e32 v7, v0, v2
	v_mov_b32_e32 v0, 0
	s_waitcnt lgkmcnt(0)
	v_cmp_gt_u64_e32 vcc_lo, s[0:1], v[11:12]
	v_cmp_gt_u32_e64 s0, 55, v7
	s_and_b32 s1, vcc_lo, s0
	s_and_saveexec_b32 s6, s1
	s_cbranch_execz .LBB0_10
; %bb.9:
	s_add_u32 s4, s16, s4
	s_addc_u32 s5, s17, s5
	v_mov_b32_e32 v8, 0
	s_load_dwordx2 s[4:5], s[4:5], 0x0
	s_waitcnt lgkmcnt(0)
	v_mul_lo_u32 v0, s5, v11
	v_mul_lo_u32 v2, s4, v12
	v_mad_u64_u32 v[5:6], null, s4, v11, 0
	v_add3_u32 v6, v6, v2, v0
	v_lshlrev_b64 v[2:3], 2, v[3:4]
	v_lshlrev_b64 v[5:6], 2, v[5:6]
	v_add_co_u32 v0, s1, s12, v5
	v_add_co_ci_u32_e64 v6, s1, s13, v6, s1
	v_lshlrev_b64 v[4:5], 2, v[7:8]
	v_add_co_u32 v0, s1, v0, v2
	v_add_co_ci_u32_e64 v3, s1, v6, v3, s1
	v_add_co_u32 v2, s1, v0, v4
	v_add_co_ci_u32_e64 v3, s1, v3, v5, s1
	;; [unrolled: 2-line block ×3, first 2 shown]
	s_clause 0x10
	global_load_dword v0, v[2:3], off
	global_load_dword v33, v[2:3], off offset:220
	global_load_dword v34, v[2:3], off offset:440
	;; [unrolled: 1-line block ×16, first 2 shown]
	s_waitcnt vmcnt(16)
	v_lshrrev_b32_e32 v22, 16, v0
	s_waitcnt vmcnt(15)
	v_lshrrev_b32_e32 v29, 16, v33
	;; [unrolled: 2-line block ×17, first 2 shown]
.LBB0_10:
	s_or_b32 exec_lo, exec_lo, s6
	v_add_f16_e32 v73, v33, v43
	v_sub_f16_e32 v46, v29, v6
	v_add_f16_e32 v70, v34, v42
	v_sub_f16_e32 v48, v27, v14
	v_add_f16_e32 v72, v35, v41
	v_pk_mul_f16 v60, 0x37222de8, v73 op_sel_hi:[1,0]
	v_pk_mul_f16 v62, 0xb461b8d2, v73 op_sel_hi:[1,0]
	;; [unrolled: 1-line block ×3, first 2 shown]
	v_sub_f16_e32 v3, v26, v15
	v_add_f16_e32 v67, v36, v40
	v_pk_fma_f16 v4, 0xbb29bbf7, v46, v60 op_sel_hi:[1,0,1]
	v_pk_mul_f16 v59, 0xbbddb461, v72 op_sel_hi:[1,0]
	v_pk_fma_f16 v13, 0xba62b1e1, v48, v61 op_sel_hi:[1,0,1]
	v_pk_mul_f16 v63, 0xbacdb461, v70 op_sel_hi:[1,0]
	v_sub_f16_e32 v44, v25, v16
	v_pk_add_f16 v4, v0, v4 op_sel_hi:[0,1]
	v_add_f16_e32 v64, v31, v39
	v_pk_mul_f16 v55, 0xb4613b76, v67 op_sel_hi:[1,0]
	v_pk_fma_f16 v49, 0x31e13bb2, v3, v59 op_sel_hi:[1,0,1]
	v_pk_fma_f16 v50, 0x38363bb2, v48, v63 op_sel_hi:[1,0,1]
	v_pk_add_f16 v4, v4, v13
	v_pk_fma_f16 v13, 0xbbb2ba62, v46, v62 op_sel_hi:[1,0,1]
	v_pk_mul_f16 v58, 0x39e93b76, v72 op_sel_hi:[1,0]
	v_sub_f16_e32 v45, v24, v17
	v_pk_mul_f16 v47, 0x39e93722, v64 op_sel_hi:[1,0]
	v_pk_fma_f16 v51, 0x3bb235c8, v44, v55 op_sel_hi:[1,0,1]
	v_pk_add_f16 v13, v0, v13 op_sel_hi:[0,1]
	v_pk_add_f16 v4, v4, v49
	v_pk_fma_f16 v49, 0x3964b5c8, v3, v58 op_sel_hi:[1,0,1]
	v_pk_mul_f16 v53, 0x3722bacd, v67 op_sel_hi:[1,0]
	v_mul_hi_u32 v2, 0xaaaaaaab, v1
	v_pk_add_f16 v13, v13, v50
	v_add_f16_e32 v68, v32, v38
	v_pk_fma_f16 v50, 0x3964bb29, v45, v47 op_sel_hi:[1,0,1]
	v_pk_add_f16 v4, v4, v51
	v_pk_fma_f16 v51, 0xbb29b836, v44, v53 op_sel_hi:[1,0,1]
	v_pk_add_f16 v13, v13, v49
	v_pk_mul_f16 v49, 0xbbdd2de8, v64 op_sel_hi:[1,0]
	v_sub_f16_e32 v56, v23, v18
	v_add_f16_e32 v69, v30, v37
	v_lshrrev_b32_e32 v2, 1, v2
	v_pk_mul_f16 v52, 0x3b76bacd, v68 op_sel_hi:[1,0]
	v_pk_add_f16 v4, v4, v50
	v_pk_add_f16 v13, v13, v51
	v_pk_fma_f16 v51, 0xb1e13bf7, v45, v49 op_sel_hi:[1,0,1]
	v_pk_mul_f16 v50, 0x2de839e9, v68 op_sel_hi:[1,0]
	v_lshl_add_u32 v2, v2, 1, v2
	v_pk_fma_f16 v57, 0xb5c8b836, v56, v52 op_sel_hi:[1,0,1]
	v_sub_f16_e32 v65, v21, v19
	v_pk_mul_f16 v54, 0x2de8b8d2, v69 op_sel_hi:[1,0]
	v_pk_add_f16 v13, v13, v51
	v_pk_fma_f16 v66, 0x3bf7b964, v56, v50 op_sel_hi:[1,0,1]
	v_pk_mul_f16 v51, 0x3b76bbdd, v69 op_sel_hi:[1,0]
	v_add_f16_e32 v71, v5, v8
	v_pk_add_f16 v74, v4, v57
	v_pk_fma_f16 v75, 0xbbf73a62, v65, v54 op_sel_hi:[1,0,1]
	v_pk_add_f16 v13, v13, v66
	v_pk_fma_f16 v76, 0xb5c8b1e1, v65, v51 op_sel_hi:[1,0,1]
	v_sub_f16_e32 v66, v20, v28
	v_pk_mul_f16 v57, 0xbacd39e9, v71 op_sel_hi:[1,0]
	v_pk_mul_f16 v4, 0xb8d23722, v71 op_sel_hi:[1,0]
	v_sub_nc_u32_e32 v1, v1, v2
	v_pk_add_f16 v2, v74, v75
	v_pk_add_f16 v13, v13, v76
	v_pk_fma_f16 v74, 0xb8363964, v66, v57 op_sel_hi:[1,0,1]
	v_pk_fma_f16 v75, 0xba623b29, v66, v4 op_sel_hi:[1,0,1]
	v_mul_u32_u24_e32 v76, 0x3a7, v1
	v_pk_add_f16 v2, v2, v74
	v_pk_add_f16 v1, v13, v75
	v_lshlrev_b32_e32 v13, 1, v76
	s_and_saveexec_b32 s1, s0
	s_cbranch_execz .LBB0_12
; %bb.11:
	v_pack_b32_f16 v73, v73, v73
	v_pack_b32_f16 v75, v46, v46
	v_pk_mul_f16 v76, 0xbb29bbf7, v46 op_sel_hi:[1,0]
	v_pack_b32_f16 v70, v70, v70
	v_pk_mul_f16 v46, 0xbbb2ba62, v46 op_sel_hi:[1,0]
	v_pk_mul_f16 v77, 0x39e93b76, v73
	v_add_f16_e32 v74, v0, v33
	v_perm_b32 v0, v0, v0, 0x5040100
	v_pack_b32_f16 v78, v48, v48
	v_pk_mul_f16 v79, 0xba62b1e1, v48 op_sel_hi:[1,0]
	v_pack_b32_f16 v72, v72, v72
	v_pk_fma_f16 v80, 0xb964b5c8, v75, v77 neg_lo:[0,1,0] neg_hi:[0,1,0]
	v_pk_mul_f16 v81, 0x2de839e9, v70
	v_pk_mul_f16 v48, 0x38363bb2, v48 op_sel_hi:[1,0]
	v_pk_add_f16 v46, v62, v46 neg_lo:[0,1] neg_hi:[0,1]
	v_pack_b32_f16 v82, v3, v3
	v_pk_add_f16 v80, v0, v80
	v_pk_fma_f16 v84, 0xbbf7b964, v78, v81 neg_lo:[0,1,0] neg_hi:[0,1,0]
	v_pack_b32_f16 v67, v67, v67
	v_pk_mul_f16 v86, 0xb8d23722, v72
	v_pk_add_f16 v60, v60, v76 neg_lo:[0,1] neg_hi:[0,1]
	v_pk_add_f16 v48, v63, v48 neg_lo:[0,1] neg_hi:[0,1]
	v_pk_add_f16 v46, v0, v46
	v_pk_mul_f16 v83, 0x31e13bb2, v3 op_sel_hi:[1,0]
	v_pack_b32_f16 v85, v44, v44
	v_pk_add_f16 v80, v80, v84
	v_pk_fma_f16 v76, 0xba62bb29, v82, v86 neg_lo:[0,1,0] neg_hi:[0,1,0]
	v_pk_add_f16 v61, v61, v79 neg_lo:[0,1] neg_hi:[0,1]
	v_pk_add_f16 v60, v0, v60
	v_pk_mul_f16 v3, 0x3964b5c8, v3 op_sel_hi:[1,0]
	v_pk_add_f16 v46, v46, v48
	v_pk_mul_f16 v48, 0xbbdd2de8, v67
	v_pk_mul_f16 v84, 0x3bb235c8, v44 op_sel_hi:[1,0]
	v_pack_b32_f16 v64, v64, v64
	v_pk_add_f16 v76, v80, v76
	v_pk_add_f16 v60, v60, v61
	v_pk_add_f16 v59, v59, v83 neg_lo:[0,1] neg_hi:[0,1]
	v_pk_add_f16 v3, v58, v3 neg_lo:[0,1] neg_hi:[0,1]
	v_pk_fma_f16 v58, 0xb1e1bbf7, v85, v48 neg_lo:[0,1,0] neg_hi:[0,1,0]
	v_add_f16_e32 v74, v74, v34
	v_pack_b32_f16 v79, v45, v45
	v_pk_mul_f16 v80, 0x3964bb29, v45 op_sel_hi:[1,0]
	v_pack_b32_f16 v68, v68, v68
	v_pk_add_f16 v59, v60, v59
	v_pk_add_f16 v55, v55, v84 neg_lo:[0,1] neg_hi:[0,1]
	v_pk_mul_f16 v44, 0xbb29b836, v44 op_sel_hi:[1,0]
	v_pk_add_f16 v58, v76, v58
	v_pk_mul_f16 v76, 0xb8d23b76, v64
	v_pk_mul_f16 v64, 0xbacdb461, v64
	v_add_f16_e32 v74, v74, v35
	v_pack_b32_f16 v61, v56, v56
	v_pk_mul_f16 v83, 0xb5c8b836, v56 op_sel_hi:[1,0]
	v_pack_b32_f16 v69, v69, v69
	v_pk_add_f16 v55, v59, v55
	v_pk_mul_f16 v59, 0x3722bbdd, v68
	v_pk_add_f16 v47, v47, v80 neg_lo:[0,1] neg_hi:[0,1]
	v_pk_add_f16 v44, v53, v44 neg_lo:[0,1] neg_hi:[0,1]
	v_pk_fma_f16 v53, 0x3836bbb2, v79, v64 neg_lo:[0,1,0] neg_hi:[0,1,0]
	v_pk_mul_f16 v68, 0xb461b8d2, v68
	v_add_f16_e32 v74, v74, v36
	v_pack_b32_f16 v62, v65, v65
	v_pk_mul_f16 v63, 0xbbf73a62, v65 op_sel_hi:[1,0]
	v_pack_b32_f16 v71, v71, v71
	v_pk_mul_f16 v45, 0xb1e13bf7, v45 op_sel_hi:[1,0]
	v_pk_mul_f16 v80, 0xb46139e9, v69
	v_pk_add_f16 v3, v46, v3
	v_pk_mul_f16 v69, 0x3722bacd, v69
	v_pk_add_f16 v53, v58, v53
	v_pk_fma_f16 v58, 0x3bb2ba62, v61, v68 neg_lo:[0,1,0] neg_hi:[0,1,0]
	v_pk_add_f16 v47, v55, v47
	v_pk_add_f16 v52, v52, v83 neg_lo:[0,1] neg_hi:[0,1]
	v_add_f16_e32 v74, v74, v31
	v_pack_b32_f16 v60, v66, v66
	v_pk_mul_f16 v84, 0xb8363964, v66 op_sel_hi:[1,0]
	v_pk_mul_f16 v56, 0x3bf7b964, v56 op_sel_hi:[1,0]
	v_pk_mul_f16 v46, 0x2de8b461, v71
	v_pk_mul_f16 v71, 0x3b76bbdd, v71
	v_pk_add_f16 v3, v3, v44
	v_pk_add_f16 v44, v49, v45 neg_lo:[0,1] neg_hi:[0,1]
	v_pk_add_f16 v45, v53, v58
	v_pk_fma_f16 v49, 0x3b29b836, v62, v69 neg_lo:[0,1,0] neg_hi:[0,1,0]
	v_pk_add_f16 v47, v47, v52
	v_pk_add_f16 v52, v54, v63 neg_lo:[0,1] neg_hi:[0,1]
	v_add_f16_e32 v74, v74, v32
	v_pk_mul_f16 v65, 0xb5c8b1e1, v65 op_sel_hi:[1,0]
	v_pk_mul_f16 v73, 0xbbddbacd, v73
	v_pk_add_f16 v3, v3, v44
	v_pk_add_f16 v44, v50, v56 neg_lo:[0,1] neg_hi:[0,1]
	v_pk_add_f16 v45, v45, v49
	v_pk_fma_f16 v49, 0x35c8b1e1, v60, v71 neg_lo:[0,1,0] neg_hi:[0,1,0]
	v_pk_add_f16 v47, v47, v52
	v_pk_add_f16 v50, v57, v84 neg_lo:[0,1] neg_hi:[0,1]
	v_add_f16_e32 v74, v74, v30
	v_pk_mul_f16 v70, 0x3b763722, v70
	v_pk_add_f16 v3, v3, v44
	v_pk_add_f16 v51, v51, v65 neg_lo:[0,1] neg_hi:[0,1]
	v_pk_add_f16 v44, v45, v49
	v_pk_add_f16 v45, v47, v50
	v_pk_fma_f16 v47, 0xb1e1b836, v75, v73
	v_pk_fma_f16 v49, 0xb964b5c8, v75, v77
	v_add_f16_e32 v74, v74, v5
	v_pk_fma_f16 v50, 0xb1e1b836, v75, v73 neg_lo:[0,1,0] neg_hi:[0,1,0]
	v_pk_mul_f16 v72, 0xbacd2de8, v72
	v_pk_add_f16 v3, v3, v51
	v_pk_add_f16 v47, v0, v47
	v_pk_fma_f16 v51, 0x35c83b29, v78, v70
	v_pk_add_f16 v49, v0, v49
	v_pk_fma_f16 v53, 0xbbf7b964, v78, v81
	v_add_f16_e32 v74, v74, v8
	v_pk_add_f16 v0, v0, v50
	v_pk_fma_f16 v50, 0x35c83b29, v78, v70 neg_lo:[0,1,0] neg_hi:[0,1,0]
	v_pk_mul_f16 v67, 0x39e9b8d2, v67
	v_pk_add_f16 v47, v47, v51
	v_pk_fma_f16 v51, 0xb836bbf7, v82, v72
	v_pk_add_f16 v49, v49, v53
	v_pk_fma_f16 v53, 0xba62bb29, v82, v86
	v_add_f16_e32 v74, v37, v74
	v_pk_add_f16 v0, v0, v50
	v_pk_fma_f16 v50, 0xb836bbf7, v82, v72 neg_lo:[0,1,0] neg_hi:[0,1,0]
	v_pk_add_f16 v47, v47, v51
	v_pk_fma_f16 v51, 0x39643a62, v85, v67
	v_pk_add_f16 v49, v49, v53
	v_pk_fma_f16 v48, 0xb1e1bbf7, v85, v48
	v_add_f16_e32 v74, v38, v74
	v_pk_add_f16 v0, v0, v50
	v_pk_fma_f16 v50, 0x39643a62, v85, v67 neg_lo:[0,1,0] neg_hi:[0,1,0]
	;; [unrolled: 7-line block ×3, first 2 shown]
	v_pk_add_f16 v47, v47, v51
	v_pk_fma_f16 v51, 0x3b29b1e1, v61, v59
	v_pk_add_f16 v48, v48, v49
	v_pk_fma_f16 v49, 0x3bb2ba62, v61, v68
	v_add_f16_e32 v74, v40, v74
	v_pk_mul_f16 v66, 0xba623b29, v66 op_sel_hi:[1,0]
	v_pk_add_f16 v0, v0, v50
	v_pk_fma_f16 v50, 0x3b29b1e1, v61, v59 neg_lo:[0,1,0] neg_hi:[0,1,0]
	v_pk_add_f16 v47, v47, v51
	v_pk_fma_f16 v51, 0xbbb23964, v62, v80
	v_pk_add_f16 v48, v48, v49
	v_pk_fma_f16 v49, 0x3b29b836, v62, v69
	v_add_f16_e32 v74, v41, v74
	v_pk_add_f16 v4, v4, v66 neg_lo:[0,1] neg_hi:[0,1]
	v_pk_add_f16 v0, v0, v50
	v_pk_fma_f16 v50, 0xbbb23964, v62, v80 neg_lo:[0,1,0] neg_hi:[0,1,0]
	v_pk_add_f16 v47, v47, v51
	v_pk_fma_f16 v51, 0x3bf7bbb2, v60, v46
	v_pk_add_f16 v48, v48, v49
	v_pk_fma_f16 v49, 0x35c8b1e1, v60, v71
	v_add_f16_e32 v74, v42, v74
	v_mul_u32_u24_e32 v55, 34, v7
	v_pk_add_f16 v3, v3, v4
	v_pk_add_f16 v0, v0, v50
	v_pk_fma_f16 v4, 0x3bf7bbb2, v60, v46 neg_lo:[0,1,0] neg_hi:[0,1,0]
	v_pk_add_f16 v50, v47, v51
	v_pk_add_f16 v48, v48, v49
	v_add_f16_e32 v74, v43, v74
	v_add3_u32 v52, 0, v55, v13
	v_alignbit_b32 v45, v45, v45, 16
	v_alignbit_b32 v46, v3, v3, 16
	v_pk_add_f16 v47, v0, v4
	v_alignbit_b32 v0, v50, v50, 16
	v_alignbit_b32 v3, v48, v48, 16
	ds_write_b16 v52, v74
	ds_write_b128 v52, v[44:47] offset:2
	ds_write_b128 v52, v[0:3] offset:18
.LBB0_12:
	s_or_b32 exec_lo, exec_lo, s1
	v_sub_f16_e32 v67, v33, v43
	v_add_f16_e32 v57, v29, v6
	v_sub_f16_e32 v65, v34, v42
	v_add_f16_e32 v58, v27, v14
	v_sub_f16_e32 v66, v35, v41
	v_pk_mul_f16 v49, 0xbb29bbf7, v67 op_sel_hi:[1,0]
	v_pk_mul_f16 v47, 0xbbb2ba62, v67 op_sel_hi:[1,0]
	;; [unrolled: 1-line block ×3, first 2 shown]
	v_add_f16_e32 v59, v26, v15
	v_sub_f16_e32 v64, v36, v40
	v_pk_fma_f16 v0, 0x37222de8, v57, v49 op_sel_hi:[1,0,1] neg_lo:[0,0,1] neg_hi:[0,0,1]
	v_pk_mul_f16 v52, 0x31e13bb2, v66 op_sel_hi:[1,0]
	v_pk_fma_f16 v3, 0xb8d2bbdd, v58, v50 op_sel_hi:[1,0,1] neg_lo:[0,0,1] neg_hi:[0,0,1]
	v_pk_fma_f16 v4, 0xb461b8d2, v57, v47 op_sel_hi:[1,0,1] neg_lo:[0,0,1] neg_hi:[0,0,1]
	v_pk_mul_f16 v48, 0x38363bb2, v65 op_sel_hi:[1,0]
	v_pk_add_f16 v0, v22, v0 op_sel_hi:[0,1]
	v_add_f16_e32 v60, v25, v16
	v_sub_f16_e32 v70, v31, v39
	v_pk_mul_f16 v53, 0x3bb235c8, v64 op_sel_hi:[1,0]
	v_sub_f16_e32 v71, v30, v37
	v_pk_add_f16 v0, v0, v3
	v_pk_fma_f16 v3, 0xbbddb461, v59, v52 op_sel_hi:[1,0,1] neg_lo:[0,0,1] neg_hi:[0,0,1]
	v_pk_add_f16 v4, v22, v4 op_sel_hi:[0,1]
	v_pk_fma_f16 v30, 0xbacdb461, v58, v48 op_sel_hi:[1,0,1] neg_lo:[0,0,1] neg_hi:[0,0,1]
	v_pk_mul_f16 v46, 0x3964b5c8, v66 op_sel_hi:[1,0]
	v_add_f16_e32 v61, v24, v17
	v_sub_f16_e32 v69, v32, v38
	v_pk_add_f16 v0, v0, v3
	v_pk_fma_f16 v3, 0xb4613b76, v60, v53 op_sel_hi:[1,0,1] neg_lo:[0,0,1] neg_hi:[0,0,1]
	v_pk_mul_f16 v54, 0x3964bb29, v70 op_sel_hi:[1,0]
	v_pk_add_f16 v4, v4, v30
	v_pk_fma_f16 v30, 0x39e93b76, v59, v46 op_sel_hi:[1,0,1] neg_lo:[0,0,1] neg_hi:[0,0,1]
	v_pk_mul_f16 v42, 0xbb29b836, v64 op_sel_hi:[1,0]
	v_add_f16_e32 v62, v23, v18
	v_pk_add_f16 v0, v0, v3
	v_pk_fma_f16 v3, 0x39e93722, v61, v54 op_sel_hi:[1,0,1] neg_lo:[0,0,1] neg_hi:[0,0,1]
	v_pk_mul_f16 v51, 0xb5c8b836, v69 op_sel_hi:[1,0]
	v_pk_add_f16 v4, v4, v30
	v_pk_fma_f16 v30, 0x3722bacd, v60, v42 op_sel_hi:[1,0,1] neg_lo:[0,0,1] neg_hi:[0,0,1]
	v_pk_mul_f16 v41, 0xb1e13bf7, v70 op_sel_hi:[1,0]
	v_sub_f16_e32 v72, v5, v8
	v_pk_add_f16 v0, v0, v3
	v_pk_fma_f16 v3, 0x3b76bacd, v62, v51 op_sel_hi:[1,0,1] neg_lo:[0,0,1] neg_hi:[0,0,1]
	v_lshlrev_b32_e32 v5, 1, v7
	v_pk_add_f16 v4, v4, v30
	v_pk_fma_f16 v8, 0xbbdd2de8, v61, v41 op_sel_hi:[1,0,1] neg_lo:[0,0,1] neg_hi:[0,0,1]
	s_waitcnt lgkmcnt(0)
	v_pk_add_f16 v73, v0, v3
	v_add_nc_u32_e32 v3, 0, v5
	s_barrier
	v_pk_add_f16 v4, v4, v8
	v_add3_u32 v8, 0, v13, v5
	buffer_gl0_inv
	v_add_nc_u32_e32 v0, v3, v13
	ds_read_u16 v30, v8
	ds_read_u16 v40, v0 offset:170
	ds_read_u16 v39, v0 offset:340
	;; [unrolled: 1-line block ×10, first 2 shown]
	v_pk_mul_f16 v43, 0x3bf7b964, v69 op_sel_hi:[1,0]
	v_add_f16_e32 v63, v21, v19
	v_pk_mul_f16 v55, 0xbbf73a62, v71 op_sel_hi:[1,0]
	v_pk_mul_f16 v44, 0xb5c8b1e1, v71 op_sel_hi:[1,0]
	v_add_f16_e32 v68, v20, v28
	v_pk_fma_f16 v45, 0x2de839e9, v62, v43 op_sel_hi:[1,0,1] neg_lo:[0,0,1] neg_hi:[0,0,1]
	v_pk_mul_f16 v56, 0xb8363964, v72 op_sel_hi:[1,0]
	v_pk_fma_f16 v5, 0x2de8b8d2, v63, v55 op_sel_hi:[1,0,1] neg_lo:[0,0,1] neg_hi:[0,0,1]
	v_pk_fma_f16 v74, 0x3b76bbdd, v63, v44 op_sel_hi:[1,0,1] neg_lo:[0,0,1] neg_hi:[0,0,1]
	s_waitcnt lgkmcnt(0)
	v_pk_add_f16 v4, v4, v45
	v_pk_mul_f16 v45, 0xba623b29, v72 op_sel_hi:[1,0]
	v_pk_add_f16 v5, v73, v5
	v_pk_fma_f16 v73, 0xbacd39e9, v68, v56 op_sel_hi:[1,0,1] neg_lo:[0,0,1] neg_hi:[0,0,1]
	s_barrier
	v_pk_add_f16 v4, v4, v74
	v_pk_fma_f16 v74, 0xb8d23722, v68, v45 op_sel_hi:[1,0,1] neg_lo:[0,0,1] neg_hi:[0,0,1]
	buffer_gl0_inv
	v_pk_add_f16 v5, v5, v73
	v_pk_add_f16 v4, v4, v74
	s_and_saveexec_b32 s1, s0
	s_cbranch_execz .LBB0_14
; %bb.13:
	v_add_f16_e32 v29, v22, v29
	v_pack_b32_f16 v67, v67, v67
	v_pack_b32_f16 v73, v57, v57
	v_perm_b32 v22, v22, v22, 0x5040100
	v_pack_b32_f16 v74, v58, v58
	v_add_f16_e32 v27, v29, v27
	v_pack_b32_f16 v29, v65, v65
	v_pack_b32_f16 v66, v66, v66
	;; [unrolled: 1-line block ×4, first 2 shown]
	v_add_f16_e32 v26, v27, v26
	v_pack_b32_f16 v27, v64, v64
	v_pack_b32_f16 v64, v61, v61
	;; [unrolled: 1-line block ×3, first 2 shown]
	v_pk_mul_f16 v80, 0x39e93722, v61 op_sel_hi:[1,0]
	v_add_f16_e32 v25, v26, v25
	v_pack_b32_f16 v26, v69, v69
	v_pack_b32_f16 v69, v63, v63
	v_pk_mul_f16 v81, 0x3b76bacd, v62 op_sel_hi:[1,0]
	v_pk_mul_f16 v82, 0x2de8b8d2, v63 op_sel_hi:[1,0]
	v_add_f16_e32 v24, v25, v24
	v_pack_b32_f16 v65, v59, v59
	v_pack_b32_f16 v25, v72, v72
	v_pk_mul_f16 v72, 0x37222de8, v57 op_sel_hi:[1,0]
	v_pk_mul_f16 v83, 0xba62bb29, v66
	v_add_f16_e32 v23, v24, v23
	v_pk_mul_f16 v24, 0xb4613b76, v60 op_sel_hi:[1,0]
	v_pack_b32_f16 v70, v70, v70
	v_pk_mul_f16 v78, 0xb8d2bbdd, v58 op_sel_hi:[1,0]
	v_pk_mul_f16 v84, 0xb1e1bbf7, v27
	v_add_f16_e32 v21, v23, v21
	v_pk_mul_f16 v23, 0xbacd39e9, v68 op_sel_hi:[1,0]
	v_pk_add_f16 v49, v72, v49
	v_pk_fma_f16 v72, 0xb8d23722, v65, v83
	v_pk_mul_f16 v85, 0x3836bbb2, v70
	v_add_f16_e32 v20, v21, v20
	v_pk_mul_f16 v21, 0x3722bacd, v60 op_sel_hi:[1,0]
	v_pk_mul_f16 v60, 0xbbdd2de8, v61 op_sel_hi:[1,0]
	;; [unrolled: 1-line block ×4, first 2 shown]
	v_add_f16_e32 v20, v20, v28
	v_pk_mul_f16 v28, 0xb964b5c8, v67
	v_pk_mul_f16 v63, 0xb8d23722, v68 op_sel_hi:[1,0]
	v_pk_mul_f16 v68, 0xbbf7b964, v29
	v_pack_b32_f16 v71, v71, v71
	v_add_f16_e32 v19, v19, v20
	v_pk_fma_f16 v20, 0x39e93b76, v73, v28
	v_pk_fma_f16 v28, 0x39e93b76, v73, v28 neg_lo:[0,0,1] neg_hi:[0,0,1]
	v_pk_fma_f16 v86, 0x2de839e9, v74, v68
	v_pk_fma_f16 v68, 0x2de839e9, v74, v68 neg_lo:[0,0,1] neg_hi:[0,0,1]
	v_add_f16_e32 v18, v18, v19
	v_pk_add_f16 v19, v22, v20
	v_pk_add_f16 v28, v22, v28
	v_pk_mul_f16 v20, 0x3bb2ba62, v26
	v_pk_mul_f16 v79, 0xbbddb461, v59 op_sel_hi:[1,0]
	v_add_f16_e32 v17, v17, v18
	v_pk_add_f16 v18, v19, v86
	v_pk_add_f16 v19, v78, v50
	v_pk_fma_f16 v50, 0xbbdd2de8, v75, v84
	v_pk_add_f16 v28, v28, v68
	v_add_f16_e32 v16, v16, v17
	v_pk_add_f16 v17, v18, v72
	v_pk_fma_f16 v18, 0xbacdb461, v64, v85
	v_pk_mul_f16 v57, 0xb461b8d2, v57 op_sel_hi:[1,0]
	v_pk_mul_f16 v58, 0xbacdb461, v58 op_sel_hi:[1,0]
	v_add_f16_e32 v15, v15, v16
	v_pk_add_f16 v16, v17, v50
	v_pk_fma_f16 v50, 0xb8d23722, v65, v83 neg_lo:[0,0,1] neg_hi:[0,0,1]
	v_pk_fma_f16 v17, 0xb461b8d2, v76, v20
	v_pk_mul_f16 v59, 0x39e93b76, v59 op_sel_hi:[1,0]
	v_add_f16_e32 v14, v14, v15
	v_pk_add_f16 v15, v16, v18
	v_pk_fma_f16 v16, 0xbbdd2de8, v75, v84 neg_lo:[0,0,1] neg_hi:[0,0,1]
	v_pk_add_f16 v18, v22, v49
	v_pk_add_f16 v28, v28, v50
	v_add_f16_e32 v49, v6, v14
	v_pk_add_f16 v6, v15, v17
	v_pk_mul_f16 v14, 0x3b29b836, v71
	v_pk_add_f16 v15, v18, v19
	v_pk_add_f16 v17, v79, v52
	;; [unrolled: 1-line block ×3, first 2 shown]
	v_pk_fma_f16 v18, 0xbacdb461, v64, v85 neg_lo:[0,0,1] neg_hi:[0,0,1]
	v_pk_fma_f16 v19, 0x3722bacd, v69, v14
	v_pk_mul_f16 v28, 0x35c8b1e1, v25
	v_pk_add_f16 v15, v15, v17
	v_pk_add_f16 v17, v24, v53
	;; [unrolled: 1-line block ×3, first 2 shown]
	v_pk_fma_f16 v18, 0xb461b8d2, v76, v20 neg_lo:[0,0,1] neg_hi:[0,0,1]
	v_pk_add_f16 v6, v6, v19
	v_pk_fma_f16 v19, 0x3b76bbdd, v77, v28
	v_pk_add_f16 v15, v15, v17
	v_pk_add_f16 v17, v80, v54
	;; [unrolled: 1-line block ×3, first 2 shown]
	v_pk_fma_f16 v18, 0x3722bacd, v69, v14 neg_lo:[0,0,1] neg_hi:[0,0,1]
	v_pk_add_f16 v14, v6, v19
	v_pk_add_f16 v6, v57, v47
	;; [unrolled: 1-line block ×5, first 2 shown]
	v_pk_fma_f16 v18, 0x3b76bbdd, v77, v28 neg_lo:[0,0,1] neg_hi:[0,0,1]
	v_pk_add_f16 v6, v22, v6
	v_pk_add_f16 v19, v58, v48
	;; [unrolled: 1-line block ×5, first 2 shown]
	v_pk_mul_f16 v16, 0xb1e1b836, v67
	v_pk_add_f16 v6, v6, v19
	v_pk_add_f16 v19, v59, v46
	;; [unrolled: 1-line block ×4, first 2 shown]
	v_pk_fma_f16 v20, 0xbbddbacd, v73, v16
	v_pk_mul_f16 v23, 0x35c83b29, v29
	v_pk_fma_f16 v16, 0xbbddbacd, v73, v16 neg_lo:[0,0,1] neg_hi:[0,0,1]
	v_pk_add_f16 v6, v6, v19
	v_pk_add_f16 v19, v21, v42
	v_pk_add_f16 v20, v22, v20
	v_pk_fma_f16 v21, 0x3b763722, v74, v23
	v_pk_mul_f16 v24, 0xb836bbf7, v66
	v_pk_add_f16 v16, v22, v16
	v_pk_fma_f16 v22, 0x3b763722, v74, v23 neg_lo:[0,0,1] neg_hi:[0,0,1]
	v_pk_add_f16 v6, v6, v19
	v_pk_add_f16 v19, v20, v21
	v_pk_fma_f16 v20, 0xbacd2de8, v65, v24
	v_pk_mul_f16 v21, 0x39643a62, v27
	v_pk_add_f16 v16, v16, v22
	v_pk_fma_f16 v22, 0xbacd2de8, v65, v24 neg_lo:[0,0,1] neg_hi:[0,0,1]
	v_pk_mul_f16 v24, 0xba62b5c8, v70
	v_pk_add_f16 v19, v19, v20
	v_pk_fma_f16 v20, 0x39e9b8d2, v75, v21
	v_pk_fma_f16 v21, 0x39e9b8d2, v75, v21 neg_lo:[0,0,1] neg_hi:[0,0,1]
	v_pk_add_f16 v16, v16, v22
	v_pk_add_f16 v23, v60, v41
	v_pk_mul_f16 v22, 0x3b29b1e1, v26
	v_pk_add_f16 v19, v19, v20
	v_pk_fma_f16 v20, 0xb8d23b76, v64, v24
	v_pk_add_f16 v16, v16, v21
	v_pk_fma_f16 v21, 0xb8d23b76, v64, v24 neg_lo:[0,0,1] neg_hi:[0,0,1]
	v_pk_add_f16 v6, v6, v23
	v_pk_add_f16 v23, v61, v43
	;; [unrolled: 1-line block ×3, first 2 shown]
	v_pk_fma_f16 v20, 0x3722bbdd, v76, v22
	v_pk_mul_f16 v24, 0xbbb23964, v71
	v_pk_add_f16 v16, v16, v21
	v_pk_fma_f16 v21, 0x3722bbdd, v76, v22 neg_lo:[0,0,1] neg_hi:[0,0,1]
	v_pk_add_f16 v6, v6, v23
	v_pk_add_f16 v22, v62, v44
	;; [unrolled: 1-line block ×3, first 2 shown]
	v_pk_fma_f16 v20, 0xb46139e9, v69, v24
	v_pk_add_f16 v16, v16, v21
	v_pk_fma_f16 v21, 0xb46139e9, v69, v24 neg_lo:[0,0,1] neg_hi:[0,0,1]
	v_pk_mul_f16 v23, 0x3bf7bbb2, v25
	v_pk_add_f16 v6, v6, v22
	v_pk_add_f16 v22, v63, v45
	;; [unrolled: 1-line block ×4, first 2 shown]
	v_pk_fma_f16 v20, 0x2de8b461, v77, v23 neg_lo:[0,0,1] neg_hi:[0,0,1]
	v_pk_fma_f16 v21, 0x2de8b461, v77, v23
	v_lshlrev_b32_e32 v23, 5, v7
	v_pk_add_f16 v15, v15, v17
	v_pk_add_f16 v6, v6, v22
	;; [unrolled: 1-line block ×4, first 2 shown]
	v_add3_u32 v19, v3, v23, v13
	v_alignbit_b32 v15, v15, v15, 16
	v_alignbit_b32 v16, v6, v6, 16
	;; [unrolled: 1-line block ×4, first 2 shown]
	ds_write_b16 v19, v49
	ds_write_b128 v19, v[14:17] offset:2
	ds_write_b128 v19, v[3:6] offset:18
.LBB0_14:
	s_or_b32 exec_lo, exec_lo, s1
	v_and_b32_e32 v3, 0xff, v7
	v_mov_b32_e32 v14, 10
	s_load_dwordx2 s[2:3], s[2:3], 0x0
	s_waitcnt lgkmcnt(0)
	s_barrier
	v_mul_lo_u16 v3, 0xf1, v3
	buffer_gl0_inv
	v_cmp_gt_u32_e64 s0, 17, v7
	v_lshrrev_b16 v3, 12, v3
	v_mul_lo_u16 v6, v3, 17
	v_and_b32_e32 v3, 0xffff, v3
	v_sub_nc_u16 v6, v7, v6
	v_mad_u32_u24 v3, 0x176, v3, 0
	v_mul_u32_u24_sdwa v14, v6, v14 dst_sel:DWORD dst_unused:UNUSED_PAD src0_sel:BYTE_0 src1_sel:DWORD
	v_lshlrev_b32_e32 v14, 2, v14
	s_clause 0x2
	global_load_dwordx4 v[15:18], v14, s[8:9]
	global_load_dwordx4 v[19:22], v14, s[8:9] offset:16
	global_load_dwordx2 v[23:24], v14, s[8:9] offset:32
	ds_read_u16 v25, v0 offset:170
	ds_read_u16 v26, v0 offset:340
	;; [unrolled: 1-line block ×3, first 2 shown]
	v_mov_b32_e32 v14, 1
	ds_read_u16 v48, v0 offset:680
	ds_read_u16 v42, v8
	ds_read_u16 v49, v0 offset:850
	ds_read_u16 v50, v0 offset:1020
	;; [unrolled: 1-line block ×6, first 2 shown]
	s_waitcnt vmcnt(0) lgkmcnt(0)
	v_lshlrev_b32_sdwa v6, v14, v6 dst_sel:DWORD dst_unused:UNUSED_PAD src0_sel:DWORD src1_sel:BYTE_0
	s_barrier
	buffer_gl0_inv
	v_add3_u32 v13, v3, v6, v13
	v_mul_f16_sdwa v3, v25, v15 dst_sel:DWORD dst_unused:UNUSED_PAD src0_sel:DWORD src1_sel:WORD_1
	v_mul_f16_sdwa v47, v40, v15 dst_sel:DWORD dst_unused:UNUSED_PAD src0_sel:DWORD src1_sel:WORD_1
	;; [unrolled: 1-line block ×5, first 2 shown]
	v_fma_f16 v40, v40, v15, -v3
	v_mul_f16_sdwa v56, v29, v17 dst_sel:DWORD dst_unused:UNUSED_PAD src0_sel:DWORD src1_sel:WORD_1
	v_mul_f16_sdwa v41, v38, v17 dst_sel:DWORD dst_unused:UNUSED_PAD src0_sel:DWORD src1_sel:WORD_1
	v_mul_f16_sdwa v27, v37, v18 dst_sel:DWORD dst_unused:UNUSED_PAD src0_sel:DWORD src1_sel:WORD_1
	v_mul_f16_sdwa v6, v36, v19 dst_sel:DWORD dst_unused:UNUSED_PAD src0_sel:DWORD src1_sel:WORD_1
	v_mul_f16_sdwa v14, v35, v20 dst_sel:DWORD dst_unused:UNUSED_PAD src0_sel:DWORD src1_sel:WORD_1
	v_mul_f16_sdwa v28, v34, v21 dst_sel:DWORD dst_unused:UNUSED_PAD src0_sel:DWORD src1_sel:WORD_1
	v_mul_f16_sdwa v43, v32, v22 dst_sel:DWORD dst_unused:UNUSED_PAD src0_sel:DWORD src1_sel:WORD_1
	v_mul_f16_sdwa v45, v31, v23 dst_sel:DWORD dst_unused:UNUSED_PAD src0_sel:DWORD src1_sel:WORD_1
	v_mul_f16_sdwa v63, v54, v24 dst_sel:DWORD dst_unused:UNUSED_PAD src0_sel:DWORD src1_sel:WORD_1
	v_fmac_f16_e32 v47, v25, v15
	v_fma_f16 v39, v39, v16, -v55
	v_fmac_f16_e32 v44, v54, v24
	v_add_f16_e32 v3, v30, v40
	v_mul_f16_sdwa v57, v48, v18 dst_sel:DWORD dst_unused:UNUSED_PAD src0_sel:DWORD src1_sel:WORD_1
	v_mul_f16_sdwa v58, v49, v19 dst_sel:DWORD dst_unused:UNUSED_PAD src0_sel:DWORD src1_sel:WORD_1
	;; [unrolled: 1-line block ×6, first 2 shown]
	v_fmac_f16_e32 v46, v26, v16
	v_fma_f16 v38, v38, v17, -v56
	v_fmac_f16_e32 v41, v29, v17
	v_fmac_f16_e32 v27, v48, v18
	;; [unrolled: 1-line block ×6, first 2 shown]
	v_fma_f16 v33, v33, v24, -v63
	v_fmac_f16_e32 v45, v53, v23
	v_sub_f16_e32 v16, v47, v44
	v_add_f16_e32 v3, v3, v39
	v_fma_f16 v29, v37, v18, -v57
	v_fma_f16 v25, v36, v19, -v58
	;; [unrolled: 1-line block ×6, first 2 shown]
	v_add_f16_e32 v15, v40, v33
	v_sub_f16_e32 v18, v46, v45
	v_sub_f16_e32 v20, v41, v43
	;; [unrolled: 1-line block ×4, first 2 shown]
	v_mul_f16_e32 v35, 0xb853, v16
	v_mul_f16_e32 v36, 0xbb47, v16
	;; [unrolled: 1-line block ×5, first 2 shown]
	v_add_f16_e32 v3, v3, v38
	v_add_f16_e32 v17, v39, v31
	;; [unrolled: 1-line block ×5, first 2 shown]
	v_mul_f16_e32 v49, 0xbb47, v18
	v_mul_f16_e32 v50, 0xba0c, v18
	v_mul_f16_e32 v51, 0x3482, v18
	v_mul_f16_e32 v52, 0x3beb, v18
	v_mul_f16_e32 v18, 0x3853, v18
	v_mul_f16_e32 v53, 0xbbeb, v20
	v_mul_f16_e32 v54, 0x3482, v20
	v_mul_f16_e32 v55, 0x3b47, v20
	v_mul_f16_e32 v56, 0xb853, v20
	v_mul_f16_e32 v20, 0xba0c, v20
	v_mul_f16_e32 v57, 0xba0c, v22
	v_mul_f16_e32 v58, 0x3beb, v22
	v_mul_f16_e32 v59, 0xb853, v22
	v_mul_f16_e32 v60, 0xb482, v22
	v_mul_f16_e32 v22, 0x3b47, v22
	v_mul_f16_e32 v61, 0xb482, v24
	v_mul_f16_e32 v62, 0x3853, v24
	v_mul_f16_e32 v63, 0xba0c, v24
	v_mul_f16_e32 v64, 0x3b47, v24
	v_mul_f16_e32 v24, 0xbbeb, v24
	v_fma_f16 v65, v15, 0x3abb, -v35
	v_fma_f16 v69, v15, 0xbbad, -v16
	v_fmac_f16_e32 v16, 0xbbad, v15
	v_add_f16_e32 v3, v3, v29
	v_fmac_f16_e32 v35, 0x3abb, v15
	v_fma_f16 v66, v15, 0x36a6, -v36
	v_fmac_f16_e32 v36, 0x36a6, v15
	v_fma_f16 v67, v15, 0xb08e, -v37
	;; [unrolled: 2-line block ×23, first 2 shown]
	v_fmac_f16_e32 v24, 0xb08e, v23
	v_add_f16_e32 v23, v30, v65
	v_add_f16_e32 v16, v30, v16
	;; [unrolled: 1-line block ×55, first 2 shown]
	ds_write_b16 v13, v15 offset:34
	ds_write_b16 v13, v17 offset:68
	ds_write_b16 v13, v19 offset:102
	ds_write_b16 v13, v21 offset:136
	ds_write_b16 v13, v30 offset:170
	ds_write_b16 v13, v16 offset:204
	v_add_f16_e32 v15, v22, v33
	ds_write_b16 v13, v23 offset:238
	ds_write_b16 v13, v20 offset:272
	;; [unrolled: 1-line block ×4, first 2 shown]
	ds_write_b16 v13, v15
	s_waitcnt lgkmcnt(0)
	s_barrier
	buffer_gl0_inv
	ds_read_u16 v15, v8
	ds_read_u16 v21, v0 offset:1292
	ds_read_u16 v17, v0 offset:1122
	;; [unrolled: 1-line block ×9, first 2 shown]
	s_and_saveexec_b32 s1, s0
	s_cbranch_execz .LBB0_16
; %bb.15:
	ds_read_u16 v1, v0 offset:714
	ds_read_u16 v2, v0 offset:1462
	;; [unrolled: 1-line block ×3, first 2 shown]
	s_waitcnt lgkmcnt(2)
	ds_read_u16_d16_hi v1, v0 offset:1088
	s_waitcnt lgkmcnt(2)
	ds_read_u16_d16_hi v2, v0 offset:1836
.LBB0_16:
	s_or_b32 exec_lo, exec_lo, s1
	v_add_f16_e32 v30, v42, v47
	v_sub_f16_e32 v33, v40, v33
	v_add_f16_e32 v35, v47, v44
	v_add_f16_e32 v36, v46, v45
	v_sub_f16_e32 v31, v39, v31
	v_add_f16_e32 v30, v30, v46
	v_mul_f16_e32 v37, 0xb853, v33
	v_mul_f16_e32 v39, 0xbb47, v33
	;; [unrolled: 1-line block ×4, first 2 shown]
	v_add_f16_e32 v30, v30, v41
	v_mul_f16_e32 v33, 0xb482, v33
	v_mul_f16_e32 v48, 0xba0c, v31
	v_fmamk_f16 v50, v35, 0x3abb, v37
	v_fma_f16 v37, v35, 0x3abb, -v37
	v_add_f16_e32 v30, v30, v27
	v_fmamk_f16 v51, v35, 0x36a6, v39
	v_fma_f16 v39, v35, 0x36a6, -v39
	v_fmamk_f16 v52, v35, 0xb08e, v40
	v_fma_f16 v40, v35, 0xb08e, -v40
	v_add_f16_e32 v30, v30, v6
	v_fmamk_f16 v53, v35, 0xb93d, v46
	v_fma_f16 v46, v35, 0xb93d, -v46
	v_fmamk_f16 v54, v35, 0xbbad, v33
	v_fma_f16 v33, v35, 0xbbad, -v33
	v_add_f16_e32 v30, v30, v14
	v_mul_f16_e32 v49, 0x3482, v31
	v_add_f16_e32 v50, v42, v50
	v_add_f16_e32 v37, v42, v37
	;; [unrolled: 1-line block ×10, first 2 shown]
	v_mul_f16_e32 v47, 0xbb47, v31
	v_fmamk_f16 v55, v36, 0xb93d, v48
	v_sub_f16_e32 v32, v38, v32
	v_add_f16_e32 v30, v30, v45
	v_add_f16_e32 v45, v42, v46
	;; [unrolled: 1-line block ×3, first 2 shown]
	v_fma_f16 v42, v36, 0xb93d, -v48
	v_fma_f16 v48, v36, 0xbbad, -v49
	v_fmamk_f16 v35, v36, 0x36a6, v47
	v_add_f16_e32 v41, v41, v43
	v_mul_f16_e32 v43, 0xbbeb, v32
	v_add_f16_e32 v39, v42, v39
	v_mul_f16_e32 v42, 0x3beb, v31
	v_mul_f16_e32 v31, 0x3853, v31
	v_add_f16_e32 v40, v48, v40
	v_fma_f16 v47, v36, 0x36a6, -v47
	v_add_f16_e32 v35, v35, v50
	v_fmamk_f16 v38, v36, 0xb08e, v42
	v_fma_f16 v42, v36, 0xb08e, -v42
	v_fmamk_f16 v48, v36, 0x3abb, v31
	v_add_f16_e32 v30, v30, v44
	v_fmamk_f16 v44, v36, 0xbbad, v49
	v_fma_f16 v31, v36, 0x3abb, -v31
	v_add_f16_e32 v36, v42, v45
	v_add_f16_e32 v42, v48, v46
	v_fmamk_f16 v45, v41, 0xb08e, v43
	v_mul_f16_e32 v46, 0x3482, v32
	v_add_f16_e32 v37, v47, v37
	v_add_f16_e32 v31, v31, v33
	v_fma_f16 v33, v41, 0xb08e, -v43
	v_mul_f16_e32 v43, 0x3b47, v32
	v_add_f16_e32 v35, v45, v35
	v_fmamk_f16 v45, v41, 0xbbad, v46
	v_fma_f16 v46, v41, 0xbbad, -v46
	v_add_f16_e32 v44, v44, v52
	v_add_f16_e32 v33, v33, v37
	v_fmamk_f16 v37, v41, 0x36a6, v43
	v_sub_f16_e32 v29, v29, v34
	v_add_f16_e32 v39, v46, v39
	v_mul_f16_e32 v46, 0xb853, v32
	v_mul_f16_e32 v32, 0xba0c, v32
	v_add_f16_e32 v38, v38, v53
	v_fma_f16 v43, v41, 0x36a6, -v43
	v_add_f16_e32 v37, v37, v44
	v_fmamk_f16 v34, v41, 0x3abb, v46
	v_add_f16_e32 v27, v27, v28
	v_mul_f16_e32 v28, 0xba0c, v29
	v_fmamk_f16 v44, v41, 0xb93d, v32
	v_add_f16_e32 v40, v43, v40
	v_fma_f16 v43, v41, 0x3abb, -v46
	v_add_f16_e32 v34, v34, v38
	v_fma_f16 v32, v41, 0xb93d, -v32
	v_fmamk_f16 v38, v27, 0xb93d, v28
	v_add_f16_e32 v41, v44, v42
	v_mul_f16_e32 v42, 0x3beb, v29
	v_fma_f16 v28, v27, 0xb93d, -v28
	v_add_f16_e32 v31, v32, v31
	v_add_f16_e32 v32, v38, v35
	v_mul_f16_e32 v35, 0xb853, v29
	v_fmamk_f16 v38, v27, 0xb08e, v42
	v_add_f16_e32 v28, v28, v33
	v_fma_f16 v33, v27, 0xb08e, -v42
	v_mul_f16_e32 v42, 0xb482, v29
	v_mul_f16_e32 v29, 0x3b47, v29
	v_sub_f16_e32 v25, v25, v26
	v_add_f16_e32 v36, v43, v36
	v_add_f16_e32 v33, v33, v39
	v_fmamk_f16 v39, v27, 0xbbad, v42
	v_fmamk_f16 v43, v27, 0x3abb, v35
	v_fma_f16 v35, v27, 0x3abb, -v35
	v_add_f16_e32 v14, v6, v14
	v_mul_f16_e32 v6, 0xb482, v25
	v_add_f16_e32 v26, v39, v34
	v_fma_f16 v34, v27, 0xbbad, -v42
	v_fmamk_f16 v39, v27, 0x36a6, v29
	v_fma_f16 v27, v27, 0x36a6, -v29
	v_add_f16_e32 v47, v55, v51
	v_add_f16_e32 v37, v43, v37
	;; [unrolled: 1-line block ×4, first 2 shown]
	v_mul_f16_e32 v36, 0x3853, v25
	v_fmamk_f16 v39, v14, 0xbbad, v6
	v_add_f16_e32 v27, v27, v31
	v_fma_f16 v6, v14, 0xbbad, -v6
	v_mul_f16_e32 v31, 0xba0c, v25
	v_add_f16_e32 v45, v45, v47
	v_add_f16_e32 v35, v35, v40
	v_fmamk_f16 v40, v14, 0x3abb, v36
	v_add_f16_e32 v32, v39, v32
	v_fma_f16 v36, v14, 0x3abb, -v36
	v_add_f16_e32 v6, v6, v28
	v_fmamk_f16 v28, v14, 0xb93d, v31
	v_mul_f16_e32 v39, 0x3b47, v25
	v_mul_f16_e32 v25, 0xbbeb, v25
	v_add_f16_e32 v38, v38, v45
	v_add_f16_e32 v33, v36, v33
	;; [unrolled: 1-line block ×3, first 2 shown]
	v_fma_f16 v31, v14, 0xb93d, -v31
	v_fmamk_f16 v36, v14, 0x36a6, v39
	v_fma_f16 v37, v14, 0x36a6, -v39
	v_fmamk_f16 v39, v14, 0xb08e, v25
	v_fma_f16 v14, v14, 0xb08e, -v25
	v_add_f16_e32 v38, v40, v38
	v_add_f16_e32 v25, v31, v35
	;; [unrolled: 1-line block ×6, first 2 shown]
	s_waitcnt lgkmcnt(0)
	s_barrier
	buffer_gl0_inv
	ds_write_b16 v13, v30
	ds_write_b16 v13, v32 offset:34
	ds_write_b16 v13, v38 offset:68
	ds_write_b16 v13, v28 offset:102
	ds_write_b16 v13, v26 offset:136
	ds_write_b16 v13, v31 offset:170
	ds_write_b16 v13, v14 offset:204
	ds_write_b16 v13, v29 offset:238
	ds_write_b16 v13, v25 offset:272
	ds_write_b16 v13, v33 offset:306
	ds_write_b16 v13, v6 offset:340
	s_waitcnt lgkmcnt(0)
	s_barrier
	buffer_gl0_inv
	ds_read_u16 v25, v8
	ds_read_u16 v31, v0 offset:1292
	ds_read_u16 v27, v0 offset:1122
	;; [unrolled: 1-line block ×9, first 2 shown]
	s_and_saveexec_b32 s1, s0
	s_cbranch_execz .LBB0_18
; %bb.17:
	ds_read_u16 v4, v0 offset:714
	ds_read_u16 v5, v0 offset:1462
	ds_read_u16 v6, v0 offset:340
	s_waitcnt lgkmcnt(2)
	ds_read_u16_d16_hi v4, v0 offset:1088
	s_waitcnt lgkmcnt(2)
	ds_read_u16_d16_hi v5, v0 offset:1836
.LBB0_18:
	s_or_b32 exec_lo, exec_lo, s1
	s_and_saveexec_b32 s1, vcc_lo
	s_cbranch_execz .LBB0_21
; %bb.19:
	v_add_nc_u32_e32 v0, 0x55, v7
	v_mov_b32_e32 v14, 0
	v_mul_lo_u32 v8, s3, v11
	v_lshlrev_b64 v[9:10], 2, v[9:10]
	v_lshlrev_b32_e32 v13, 2, v0
	v_mul_hi_u32 v0, 0xaf3addc7, v0
	v_lshlrev_b64 v[35:36], 2, v[13:14]
	v_lshlrev_b32_e32 v13, 2, v7
	v_lshrrev_b32_e32 v0, 7, v0
	v_lshlrev_b64 v[39:40], 2, v[13:14]
	v_add_co_u32 v35, vcc_lo, s8, v35
	v_add_co_ci_u32_e32 v36, vcc_lo, s9, v36, vcc_lo
	v_mul_lo_u32 v13, s2, v12
	v_add_co_u32 v39, vcc_lo, s8, v39
	global_load_dwordx4 v[35:38], v[35:36], off offset:680
	v_add_co_ci_u32_e32 v40, vcc_lo, s9, v40, vcc_lo
	v_mad_u64_u32 v[11:12], null, s2, v11, 0
	global_load_dwordx4 v[39:42], v[39:40], off offset:680
	v_add3_u32 v12, v12, v13, v8
	v_mov_b32_e32 v8, v14
	v_mul_u32_u24_e32 v13, 0x2ec, v0
	v_lshlrev_b64 v[11:12], 2, v[11:12]
	v_lshlrev_b64 v[43:44], 2, v[7:8]
	v_add_co_u32 v8, vcc_lo, s14, v11
	v_add_co_ci_u32_e32 v11, vcc_lo, s15, v12, vcc_lo
	v_add_co_u32 v0, vcc_lo, v8, v9
	v_add_co_ci_u32_e32 v12, vcc_lo, v11, v10, vcc_lo
	v_lshlrev_b64 v[10:11], 2, v[13:14]
	v_add_co_u32 v8, vcc_lo, v0, v43
	v_add_co_ci_u32_e32 v9, vcc_lo, v12, v44, vcc_lo
	v_add_co_u32 v43, vcc_lo, v8, v10
	v_add_co_ci_u32_e32 v44, vcc_lo, v9, v11, vcc_lo
	;; [unrolled: 2-line block ×4, first 2 shown]
	s_waitcnt vmcnt(1)
	v_mul_f16_sdwa v13, v22, v36 dst_sel:DWORD dst_unused:UNUSED_PAD src0_sel:DWORD src1_sel:WORD_1
	v_mul_f16_sdwa v47, v23, v35 dst_sel:DWORD dst_unused:UNUSED_PAD src0_sel:DWORD src1_sel:WORD_1
	;; [unrolled: 1-line block ×4, first 2 shown]
	s_waitcnt lgkmcnt(4)
	v_mul_f16_sdwa v50, v33, v35 dst_sel:DWORD dst_unused:UNUSED_PAD src0_sel:DWORD src1_sel:WORD_1
	s_waitcnt lgkmcnt(0)
	v_mul_f16_sdwa v51, v34, v38 dst_sel:DWORD dst_unused:UNUSED_PAD src0_sel:DWORD src1_sel:WORD_1
	v_mul_f16_sdwa v52, v32, v36 dst_sel:DWORD dst_unused:UNUSED_PAD src0_sel:DWORD src1_sel:WORD_1
	;; [unrolled: 1-line block ×3, first 2 shown]
	v_fmac_f16_e32 v13, v32, v36
	v_fmac_f16_e32 v47, v33, v35
	;; [unrolled: 1-line block ×4, first 2 shown]
	v_fma_f16 v23, v23, v35, -v50
	v_fma_f16 v24, v24, v38, -v51
	v_fma_f16 v22, v22, v36, -v52
	s_waitcnt vmcnt(0)
	v_mul_f16_sdwa v31, v18, v39 dst_sel:DWORD dst_unused:UNUSED_PAD src0_sel:DWORD src1_sel:WORD_1
	v_mul_f16_sdwa v32, v19, v40 dst_sel:DWORD dst_unused:UNUSED_PAD src0_sel:DWORD src1_sel:WORD_1
	;; [unrolled: 1-line block ×6, first 2 shown]
	v_fma_f16 v21, v21, v37, -v53
	v_mul_f16_sdwa v37, v29, v39 dst_sel:DWORD dst_unused:UNUSED_PAD src0_sel:DWORD src1_sel:WORD_1
	v_mul_f16_sdwa v38, v30, v42 dst_sel:DWORD dst_unused:UNUSED_PAD src0_sel:DWORD src1_sel:WORD_1
	v_sub_f16_e32 v50, v13, v47
	v_sub_f16_e32 v52, v23, v24
	v_add_f16_e32 v53, v47, v49
	v_sub_f16_e32 v55, v22, v23
	v_add_f16_e32 v57, v23, v24
	v_sub_f16_e32 v59, v47, v49
	v_sub_f16_e32 v60, v47, v13
	;; [unrolled: 1-line block ×3, first 2 shown]
	v_add_f16_e32 v47, v26, v47
	v_add_f16_e32 v23, v16, v23
	v_fmac_f16_e32 v31, v29, v39
	v_fmac_f16_e32 v32, v28, v40
	;; [unrolled: 1-line block ×4, first 2 shown]
	v_fma_f16 v19, v19, v40, -v35
	v_fma_f16 v17, v17, v41, -v36
	v_sub_f16_e32 v56, v21, v24
	v_sub_f16_e32 v61, v49, v48
	v_fma_f16 v18, v18, v39, -v37
	v_fma_f16 v20, v20, v42, -v38
	v_sub_f16_e32 v51, v48, v49
	v_sub_f16_e32 v54, v22, v21
	;; [unrolled: 1-line block ×3, first 2 shown]
	v_add_f16_e32 v62, v13, v48
	v_add_f16_e32 v65, v22, v21
	;; [unrolled: 1-line block ×4, first 2 shown]
	v_sub_f16_e32 v23, v31, v32
	v_sub_f16_e32 v37, v33, v34
	v_add_f16_e32 v40, v32, v34
	v_add_f16_e32 v47, v19, v17
	;; [unrolled: 1-line block ×7, first 2 shown]
	v_fma_f16 v28, -0.5, v53, v26
	v_fma_f16 v30, -0.5, v57, v16
	v_sub_f16_e32 v39, v18, v20
	v_sub_f16_e32 v41, v18, v19
	;; [unrolled: 1-line block ×5, first 2 shown]
	v_add_f16_e32 v31, v25, v31
	v_add_f16_e32 v18, v15, v18
	v_sub_f16_e32 v64, v24, v21
	v_add_f16_e32 v21, v22, v21
	v_add_f16_e32 v22, v23, v37
	v_fma_f16 v23, -0.5, v40, v25
	v_fma_f16 v40, -0.5, v47, v15
	v_sub_f16_e32 v38, v19, v17
	v_sub_f16_e32 v51, v32, v34
	v_fma_f16 v25, -0.5, v56, v25
	v_fma_f16 v15, -0.5, v61, v15
	;; [unrolled: 1-line block ×4, first 2 shown]
	v_add_f16_e32 v31, v31, v32
	v_add_f16_e32 v18, v18, v19
	v_sub_f16_e32 v42, v20, v17
	v_add_f16_e32 v19, v21, v24
	v_fmamk_f16 v21, v39, 0x3b9c, v23
	v_fmamk_f16 v24, v50, 0xbb9c, v40
	v_fmac_f16_e32 v23, 0xbb9c, v39
	v_fmac_f16_e32 v40, 0x3b9c, v50
	v_sub_f16_e32 v55, v34, v33
	v_sub_f16_e32 v60, v17, v20
	v_fmamk_f16 v32, v38, 0xbb9c, v25
	v_fmamk_f16 v47, v51, 0x3b9c, v15
	v_fmac_f16_e32 v25, 0x3b9c, v38
	v_fmac_f16_e32 v15, 0xbb9c, v51
	v_add_f16_e32 v36, v63, v64
	v_fmamk_f16 v62, v54, 0xbb9c, v28
	v_fmamk_f16 v63, v58, 0x3b9c, v30
	v_fmac_f16_e32 v28, 0x3b9c, v54
	v_fmac_f16_e32 v30, 0xbb9c, v58
	v_fmamk_f16 v64, v52, 0xbb9c, v26
	v_fmamk_f16 v65, v59, 0x3b9c, v16
	v_fmac_f16_e32 v26, 0x3b9c, v52
	v_fmac_f16_e32 v16, 0xbb9c, v59
	v_add_f16_e32 v31, v31, v34
	v_add_f16_e32 v17, v18, v17
	;; [unrolled: 1-line block ×3, first 2 shown]
	v_fmac_f16_e32 v23, 0xb8b4, v38
	v_fmac_f16_e32 v40, 0x38b4, v51
	v_add_f16_e32 v41, v53, v55
	v_add_f16_e32 v42, v57, v60
	v_fmac_f16_e32 v25, 0xb8b4, v39
	v_fmac_f16_e32 v15, 0x38b4, v50
	;; [unrolled: 1-line block ×6, first 2 shown]
	v_add_f16_e32 v13, v48, v13
	v_fmac_f16_e32 v62, 0x38b4, v52
	v_fmac_f16_e32 v63, 0xb8b4, v59
	;; [unrolled: 1-line block ×8, first 2 shown]
	v_add_f16_e32 v18, v33, v31
	v_add_f16_e32 v17, v20, v17
	v_fmac_f16_e32 v23, 0x34f2, v22
	v_fmac_f16_e32 v40, 0x34f2, v37
	;; [unrolled: 1-line block ×8, first 2 shown]
	v_add_f16_e32 v13, v13, v49
	v_fmac_f16_e32 v62, 0x34f2, v27
	v_fmac_f16_e32 v63, 0x34f2, v29
	;; [unrolled: 1-line block ×8, first 2 shown]
	v_pack_b32_f16 v17, v17, v18
	v_pack_b32_f16 v22, v40, v23
	;; [unrolled: 1-line block ×10, first 2 shown]
	global_store_dword v[8:9], v17, off
	global_store_dword v[8:9], v22, off offset:748
	global_store_dword v[8:9], v15, off offset:1496
	;; [unrolled: 1-line block ×9, first 2 shown]
	s_and_b32 exec_lo, exec_lo, s0
	s_cbranch_execz .LBB0_21
; %bb.20:
	v_mov_b32_e32 v13, 0xaa
	v_lshrrev_b32_e32 v19, 16, v4
	v_lshrrev_b32_e32 v21, 16, v5
	;; [unrolled: 1-line block ×3, first 2 shown]
	v_cndmask_b32_e64 v13, 0xffffffef, v13, s0
	v_add_lshl_u32 v13, v7, v13, 2
	v_lshlrev_b64 v[15:16], 2, v[13:14]
	v_or_b32_e32 v13, 0x220, v7
	v_lshrrev_b32_e32 v7, 16, v1
	v_lshlrev_b64 v[13:14], 2, v[13:14]
	v_add_co_u32 v15, vcc_lo, s8, v15
	v_add_co_ci_u32_e32 v16, vcc_lo, s9, v16, vcc_lo
	v_add_co_u32 v13, vcc_lo, v0, v13
	global_load_dwordx4 v[15:18], v[15:16], off offset:680
	v_add_co_ci_u32_e32 v14, vcc_lo, v12, v14, vcc_lo
	s_waitcnt vmcnt(0)
	v_mul_f16_sdwa v0, v4, v15 dst_sel:DWORD dst_unused:UNUSED_PAD src0_sel:DWORD src1_sel:WORD_1
	v_mul_f16_sdwa v12, v1, v15 dst_sel:DWORD dst_unused:UNUSED_PAD src0_sel:DWORD src1_sel:WORD_1
	v_mul_f16_sdwa v22, v19, v16 dst_sel:DWORD dst_unused:UNUSED_PAD src0_sel:DWORD src1_sel:WORD_1
	v_mul_f16_sdwa v23, v7, v16 dst_sel:DWORD dst_unused:UNUSED_PAD src0_sel:DWORD src1_sel:WORD_1
	v_mul_f16_sdwa v24, v5, v17 dst_sel:DWORD dst_unused:UNUSED_PAD src0_sel:DWORD src1_sel:WORD_1
	v_mul_f16_sdwa v25, v2, v17 dst_sel:DWORD dst_unused:UNUSED_PAD src0_sel:DWORD src1_sel:WORD_1
	v_mul_f16_sdwa v26, v21, v18 dst_sel:DWORD dst_unused:UNUSED_PAD src0_sel:DWORD src1_sel:WORD_1
	v_mul_f16_sdwa v27, v20, v18 dst_sel:DWORD dst_unused:UNUSED_PAD src0_sel:DWORD src1_sel:WORD_1
	v_fma_f16 v0, v1, v15, -v0
	v_fmac_f16_e32 v12, v4, v15
	v_fma_f16 v1, v7, v16, -v22
	v_fmac_f16_e32 v23, v19, v16
	v_fma_f16 v2, v2, v17, -v24
	v_fmac_f16_e32 v25, v5, v17
	v_fma_f16 v4, v20, v18, -v26
	v_fmac_f16_e32 v27, v21, v18
	v_add_f16_e32 v5, v3, v0
	v_add_f16_e32 v7, v1, v2
	;; [unrolled: 1-line block ×5, first 2 shown]
	v_sub_f16_e32 v17, v0, v1
	v_sub_f16_e32 v18, v4, v2
	v_add_f16_e32 v22, v6, v12
	v_sub_f16_e32 v15, v12, v27
	v_sub_f16_e32 v20, v1, v0
	;; [unrolled: 1-line block ×4, first 2 shown]
	v_add_f16_e32 v1, v5, v1
	v_fma_f16 v5, -0.5, v7, v3
	v_fmac_f16_e32 v3, -0.5, v19
	v_fma_f16 v19, -0.5, v24, v6
	v_sub_f16_e32 v16, v23, v25
	v_sub_f16_e32 v21, v2, v4
	v_fmac_f16_e32 v6, -0.5, v30
	v_add_f16_e32 v7, v17, v18
	v_add_f16_e32 v18, v22, v23
	v_sub_f16_e32 v28, v12, v23
	v_sub_f16_e32 v29, v27, v25
	v_add_f16_e32 v1, v1, v2
	v_fmamk_f16 v2, v15, 0x3b9c, v5
	v_fmamk_f16 v22, v0, 0xbb9c, v19
	v_sub_f16_e32 v12, v23, v12
	v_sub_f16_e32 v31, v25, v27
	v_add_f16_e32 v17, v20, v21
	v_fmamk_f16 v21, v16, 0xbb9c, v3
	v_fmamk_f16 v23, v26, 0x3b9c, v6
	v_fmac_f16_e32 v3, 0x3b9c, v16
	v_fmac_f16_e32 v6, 0xbb9c, v26
	;; [unrolled: 1-line block ×4, first 2 shown]
	v_add_f16_e32 v18, v18, v25
	v_add_f16_e32 v20, v28, v29
	v_fmac_f16_e32 v2, 0x38b4, v16
	v_fmac_f16_e32 v22, 0xb8b4, v26
	v_add_f16_e32 v12, v12, v31
	v_fmac_f16_e32 v21, 0x38b4, v15
	v_fmac_f16_e32 v23, 0xb8b4, v0
	;; [unrolled: 1-line block ×6, first 2 shown]
	v_add_f16_e32 v1, v1, v4
	v_add_f16_e32 v4, v18, v27
	v_fmac_f16_e32 v2, 0x34f2, v7
	v_fmac_f16_e32 v22, 0x34f2, v20
	;; [unrolled: 1-line block ×8, first 2 shown]
	v_pack_b32_f16 v0, v1, v4
	v_pack_b32_f16 v1, v2, v22
	;; [unrolled: 1-line block ×5, first 2 shown]
	global_store_dword v[8:9], v0, off offset:680
	global_store_dword v[8:9], v1, off offset:1428
	global_store_dword v[13:14], v2, off
	global_store_dword v[10:11], v3, off offset:876
	global_store_dword v[10:11], v4, off offset:1624
.LBB0_21:
	s_endpgm
	.section	.rodata,"a",@progbits
	.p2align	6, 0x0
	.amdhsa_kernel fft_rtc_fwd_len935_factors_17_11_5_wgs_255_tpt_85_halfLds_half_op_CI_CI_unitstride_sbrr_dirReg
		.amdhsa_group_segment_fixed_size 0
		.amdhsa_private_segment_fixed_size 0
		.amdhsa_kernarg_size 104
		.amdhsa_user_sgpr_count 6
		.amdhsa_user_sgpr_private_segment_buffer 1
		.amdhsa_user_sgpr_dispatch_ptr 0
		.amdhsa_user_sgpr_queue_ptr 0
		.amdhsa_user_sgpr_kernarg_segment_ptr 1
		.amdhsa_user_sgpr_dispatch_id 0
		.amdhsa_user_sgpr_flat_scratch_init 0
		.amdhsa_user_sgpr_private_segment_size 0
		.amdhsa_wavefront_size32 1
		.amdhsa_uses_dynamic_stack 0
		.amdhsa_system_sgpr_private_segment_wavefront_offset 0
		.amdhsa_system_sgpr_workgroup_id_x 1
		.amdhsa_system_sgpr_workgroup_id_y 0
		.amdhsa_system_sgpr_workgroup_id_z 0
		.amdhsa_system_sgpr_workgroup_info 0
		.amdhsa_system_vgpr_workitem_id 0
		.amdhsa_next_free_vgpr 87
		.amdhsa_next_free_sgpr 27
		.amdhsa_reserve_vcc 1
		.amdhsa_reserve_flat_scratch 0
		.amdhsa_float_round_mode_32 0
		.amdhsa_float_round_mode_16_64 0
		.amdhsa_float_denorm_mode_32 3
		.amdhsa_float_denorm_mode_16_64 3
		.amdhsa_dx10_clamp 1
		.amdhsa_ieee_mode 1
		.amdhsa_fp16_overflow 0
		.amdhsa_workgroup_processor_mode 1
		.amdhsa_memory_ordered 1
		.amdhsa_forward_progress 0
		.amdhsa_shared_vgpr_count 0
		.amdhsa_exception_fp_ieee_invalid_op 0
		.amdhsa_exception_fp_denorm_src 0
		.amdhsa_exception_fp_ieee_div_zero 0
		.amdhsa_exception_fp_ieee_overflow 0
		.amdhsa_exception_fp_ieee_underflow 0
		.amdhsa_exception_fp_ieee_inexact 0
		.amdhsa_exception_int_div_zero 0
	.end_amdhsa_kernel
	.text
.Lfunc_end0:
	.size	fft_rtc_fwd_len935_factors_17_11_5_wgs_255_tpt_85_halfLds_half_op_CI_CI_unitstride_sbrr_dirReg, .Lfunc_end0-fft_rtc_fwd_len935_factors_17_11_5_wgs_255_tpt_85_halfLds_half_op_CI_CI_unitstride_sbrr_dirReg
                                        ; -- End function
	.section	.AMDGPU.csdata,"",@progbits
; Kernel info:
; codeLenInByte = 11064
; NumSgprs: 29
; NumVgprs: 87
; ScratchSize: 0
; MemoryBound: 0
; FloatMode: 240
; IeeeMode: 1
; LDSByteSize: 0 bytes/workgroup (compile time only)
; SGPRBlocks: 3
; VGPRBlocks: 10
; NumSGPRsForWavesPerEU: 29
; NumVGPRsForWavesPerEU: 87
; Occupancy: 10
; WaveLimiterHint : 1
; COMPUTE_PGM_RSRC2:SCRATCH_EN: 0
; COMPUTE_PGM_RSRC2:USER_SGPR: 6
; COMPUTE_PGM_RSRC2:TRAP_HANDLER: 0
; COMPUTE_PGM_RSRC2:TGID_X_EN: 1
; COMPUTE_PGM_RSRC2:TGID_Y_EN: 0
; COMPUTE_PGM_RSRC2:TGID_Z_EN: 0
; COMPUTE_PGM_RSRC2:TIDIG_COMP_CNT: 0
	.text
	.p2alignl 6, 3214868480
	.fill 48, 4, 3214868480
	.type	__hip_cuid_c9465777dc79901,@object ; @__hip_cuid_c9465777dc79901
	.section	.bss,"aw",@nobits
	.globl	__hip_cuid_c9465777dc79901
__hip_cuid_c9465777dc79901:
	.byte	0                               ; 0x0
	.size	__hip_cuid_c9465777dc79901, 1

	.ident	"AMD clang version 19.0.0git (https://github.com/RadeonOpenCompute/llvm-project roc-6.4.0 25133 c7fe45cf4b819c5991fe208aaa96edf142730f1d)"
	.section	".note.GNU-stack","",@progbits
	.addrsig
	.addrsig_sym __hip_cuid_c9465777dc79901
	.amdgpu_metadata
---
amdhsa.kernels:
  - .args:
      - .actual_access:  read_only
        .address_space:  global
        .offset:         0
        .size:           8
        .value_kind:     global_buffer
      - .offset:         8
        .size:           8
        .value_kind:     by_value
      - .actual_access:  read_only
        .address_space:  global
        .offset:         16
        .size:           8
        .value_kind:     global_buffer
      - .actual_access:  read_only
        .address_space:  global
        .offset:         24
        .size:           8
        .value_kind:     global_buffer
      - .actual_access:  read_only
        .address_space:  global
        .offset:         32
        .size:           8
        .value_kind:     global_buffer
      - .offset:         40
        .size:           8
        .value_kind:     by_value
      - .actual_access:  read_only
        .address_space:  global
        .offset:         48
        .size:           8
        .value_kind:     global_buffer
      - .actual_access:  read_only
        .address_space:  global
        .offset:         56
        .size:           8
        .value_kind:     global_buffer
      - .offset:         64
        .size:           4
        .value_kind:     by_value
      - .actual_access:  read_only
        .address_space:  global
        .offset:         72
        .size:           8
        .value_kind:     global_buffer
      - .actual_access:  read_only
        .address_space:  global
        .offset:         80
        .size:           8
        .value_kind:     global_buffer
      - .actual_access:  read_only
        .address_space:  global
        .offset:         88
        .size:           8
        .value_kind:     global_buffer
      - .actual_access:  write_only
        .address_space:  global
        .offset:         96
        .size:           8
        .value_kind:     global_buffer
    .group_segment_fixed_size: 0
    .kernarg_segment_align: 8
    .kernarg_segment_size: 104
    .language:       OpenCL C
    .language_version:
      - 2
      - 0
    .max_flat_workgroup_size: 255
    .name:           fft_rtc_fwd_len935_factors_17_11_5_wgs_255_tpt_85_halfLds_half_op_CI_CI_unitstride_sbrr_dirReg
    .private_segment_fixed_size: 0
    .sgpr_count:     29
    .sgpr_spill_count: 0
    .symbol:         fft_rtc_fwd_len935_factors_17_11_5_wgs_255_tpt_85_halfLds_half_op_CI_CI_unitstride_sbrr_dirReg.kd
    .uniform_work_group_size: 1
    .uses_dynamic_stack: false
    .vgpr_count:     87
    .vgpr_spill_count: 0
    .wavefront_size: 32
    .workgroup_processor_mode: 1
amdhsa.target:   amdgcn-amd-amdhsa--gfx1030
amdhsa.version:
  - 1
  - 2
...

	.end_amdgpu_metadata
